;; amdgpu-corpus repo=ROCm/rocFFT kind=compiled arch=gfx1030 opt=O3
	.text
	.amdgcn_target "amdgcn-amd-amdhsa--gfx1030"
	.amdhsa_code_object_version 6
	.protected	fft_rtc_fwd_len1496_factors_17_8_11_wgs_187_tpt_187_halfLds_sp_op_CI_CI_unitstride_sbrr_C2R_dirReg ; -- Begin function fft_rtc_fwd_len1496_factors_17_8_11_wgs_187_tpt_187_halfLds_sp_op_CI_CI_unitstride_sbrr_C2R_dirReg
	.globl	fft_rtc_fwd_len1496_factors_17_8_11_wgs_187_tpt_187_halfLds_sp_op_CI_CI_unitstride_sbrr_C2R_dirReg
	.p2align	8
	.type	fft_rtc_fwd_len1496_factors_17_8_11_wgs_187_tpt_187_halfLds_sp_op_CI_CI_unitstride_sbrr_C2R_dirReg,@function
fft_rtc_fwd_len1496_factors_17_8_11_wgs_187_tpt_187_halfLds_sp_op_CI_CI_unitstride_sbrr_C2R_dirReg: ; @fft_rtc_fwd_len1496_factors_17_8_11_wgs_187_tpt_187_halfLds_sp_op_CI_CI_unitstride_sbrr_C2R_dirReg
; %bb.0:
	s_clause 0x2
	s_load_dwordx4 s[12:15], s[4:5], 0x0
	s_load_dwordx4 s[8:11], s[4:5], 0x58
	;; [unrolled: 1-line block ×3, first 2 shown]
	v_mul_u32_u24_e32 v1, 0x15f, v0
	v_mov_b32_e32 v3, 0
	v_add_nc_u32_sdwa v5, s6, v1 dst_sel:DWORD dst_unused:UNUSED_PAD src0_sel:DWORD src1_sel:WORD_1
	v_mov_b32_e32 v1, 0
	v_mov_b32_e32 v6, v3
	v_mov_b32_e32 v2, 0
	s_waitcnt lgkmcnt(0)
	v_cmp_lt_u64_e64 s0, s[14:15], 2
	s_and_b32 vcc_lo, exec_lo, s0
	s_cbranch_vccnz .LBB0_8
; %bb.1:
	s_load_dwordx2 s[0:1], s[4:5], 0x10
	v_mov_b32_e32 v1, 0
	v_mov_b32_e32 v2, 0
	s_add_u32 s2, s18, 8
	s_addc_u32 s3, s19, 0
	s_add_u32 s6, s16, 8
	s_addc_u32 s7, s17, 0
	v_mov_b32_e32 v37, v2
	v_mov_b32_e32 v36, v1
	s_mov_b64 s[22:23], 1
	s_waitcnt lgkmcnt(0)
	s_add_u32 s20, s0, 8
	s_addc_u32 s21, s1, 0
.LBB0_2:                                ; =>This Inner Loop Header: Depth=1
	s_load_dwordx2 s[24:25], s[20:21], 0x0
                                        ; implicit-def: $vgpr38_vgpr39
	s_mov_b32 s0, exec_lo
	s_waitcnt lgkmcnt(0)
	v_or_b32_e32 v4, s25, v6
	v_cmpx_ne_u64_e32 0, v[3:4]
	s_xor_b32 s1, exec_lo, s0
	s_cbranch_execz .LBB0_4
; %bb.3:                                ;   in Loop: Header=BB0_2 Depth=1
	v_cvt_f32_u32_e32 v4, s24
	v_cvt_f32_u32_e32 v7, s25
	s_sub_u32 s0, 0, s24
	s_subb_u32 s26, 0, s25
	v_fmac_f32_e32 v4, 0x4f800000, v7
	v_rcp_f32_e32 v4, v4
	v_mul_f32_e32 v4, 0x5f7ffffc, v4
	v_mul_f32_e32 v7, 0x2f800000, v4
	v_trunc_f32_e32 v7, v7
	v_fmac_f32_e32 v4, 0xcf800000, v7
	v_cvt_u32_f32_e32 v7, v7
	v_cvt_u32_f32_e32 v4, v4
	v_mul_lo_u32 v8, s0, v7
	v_mul_hi_u32 v9, s0, v4
	v_mul_lo_u32 v10, s26, v4
	v_add_nc_u32_e32 v8, v9, v8
	v_mul_lo_u32 v9, s0, v4
	v_add_nc_u32_e32 v8, v8, v10
	v_mul_hi_u32 v10, v4, v9
	v_mul_lo_u32 v11, v4, v8
	v_mul_hi_u32 v12, v4, v8
	v_mul_hi_u32 v13, v7, v9
	v_mul_lo_u32 v9, v7, v9
	v_mul_hi_u32 v14, v7, v8
	v_mul_lo_u32 v8, v7, v8
	v_add_co_u32 v10, vcc_lo, v10, v11
	v_add_co_ci_u32_e32 v11, vcc_lo, 0, v12, vcc_lo
	v_add_co_u32 v9, vcc_lo, v10, v9
	v_add_co_ci_u32_e32 v9, vcc_lo, v11, v13, vcc_lo
	v_add_co_ci_u32_e32 v10, vcc_lo, 0, v14, vcc_lo
	v_add_co_u32 v8, vcc_lo, v9, v8
	v_add_co_ci_u32_e32 v9, vcc_lo, 0, v10, vcc_lo
	v_add_co_u32 v4, vcc_lo, v4, v8
	v_add_co_ci_u32_e32 v7, vcc_lo, v7, v9, vcc_lo
	v_mul_hi_u32 v8, s0, v4
	v_mul_lo_u32 v10, s26, v4
	v_mul_lo_u32 v9, s0, v7
	v_add_nc_u32_e32 v8, v8, v9
	v_mul_lo_u32 v9, s0, v4
	v_add_nc_u32_e32 v8, v8, v10
	v_mul_hi_u32 v10, v4, v9
	v_mul_lo_u32 v11, v4, v8
	v_mul_hi_u32 v12, v4, v8
	v_mul_hi_u32 v13, v7, v9
	v_mul_lo_u32 v9, v7, v9
	v_mul_hi_u32 v14, v7, v8
	v_mul_lo_u32 v8, v7, v8
	v_add_co_u32 v10, vcc_lo, v10, v11
	v_add_co_ci_u32_e32 v11, vcc_lo, 0, v12, vcc_lo
	v_add_co_u32 v9, vcc_lo, v10, v9
	v_add_co_ci_u32_e32 v9, vcc_lo, v11, v13, vcc_lo
	v_add_co_ci_u32_e32 v10, vcc_lo, 0, v14, vcc_lo
	v_add_co_u32 v8, vcc_lo, v9, v8
	v_add_co_ci_u32_e32 v9, vcc_lo, 0, v10, vcc_lo
	v_add_co_u32 v4, vcc_lo, v4, v8
	v_add_co_ci_u32_e32 v11, vcc_lo, v7, v9, vcc_lo
	v_mul_hi_u32 v13, v5, v4
	v_mad_u64_u32 v[9:10], null, v6, v4, 0
	v_mad_u64_u32 v[7:8], null, v5, v11, 0
	;; [unrolled: 1-line block ×3, first 2 shown]
	v_add_co_u32 v4, vcc_lo, v13, v7
	v_add_co_ci_u32_e32 v7, vcc_lo, 0, v8, vcc_lo
	v_add_co_u32 v4, vcc_lo, v4, v9
	v_add_co_ci_u32_e32 v4, vcc_lo, v7, v10, vcc_lo
	v_add_co_ci_u32_e32 v7, vcc_lo, 0, v12, vcc_lo
	v_add_co_u32 v4, vcc_lo, v4, v11
	v_add_co_ci_u32_e32 v9, vcc_lo, 0, v7, vcc_lo
	v_mul_lo_u32 v10, s25, v4
	v_mad_u64_u32 v[7:8], null, s24, v4, 0
	v_mul_lo_u32 v11, s24, v9
	v_sub_co_u32 v7, vcc_lo, v5, v7
	v_add3_u32 v8, v8, v11, v10
	v_sub_nc_u32_e32 v10, v6, v8
	v_subrev_co_ci_u32_e64 v10, s0, s25, v10, vcc_lo
	v_add_co_u32 v11, s0, v4, 2
	v_add_co_ci_u32_e64 v12, s0, 0, v9, s0
	v_sub_co_u32 v13, s0, v7, s24
	v_sub_co_ci_u32_e32 v8, vcc_lo, v6, v8, vcc_lo
	v_subrev_co_ci_u32_e64 v10, s0, 0, v10, s0
	v_cmp_le_u32_e32 vcc_lo, s24, v13
	v_cmp_eq_u32_e64 s0, s25, v8
	v_cndmask_b32_e64 v13, 0, -1, vcc_lo
	v_cmp_le_u32_e32 vcc_lo, s25, v10
	v_cndmask_b32_e64 v14, 0, -1, vcc_lo
	v_cmp_le_u32_e32 vcc_lo, s24, v7
	;; [unrolled: 2-line block ×3, first 2 shown]
	v_cndmask_b32_e64 v15, 0, -1, vcc_lo
	v_cmp_eq_u32_e32 vcc_lo, s25, v10
	v_cndmask_b32_e64 v7, v15, v7, s0
	v_cndmask_b32_e32 v10, v14, v13, vcc_lo
	v_add_co_u32 v13, vcc_lo, v4, 1
	v_add_co_ci_u32_e32 v14, vcc_lo, 0, v9, vcc_lo
	v_cmp_ne_u32_e32 vcc_lo, 0, v10
	v_cndmask_b32_e32 v8, v14, v12, vcc_lo
	v_cndmask_b32_e32 v10, v13, v11, vcc_lo
	v_cmp_ne_u32_e32 vcc_lo, 0, v7
	v_cndmask_b32_e32 v39, v9, v8, vcc_lo
	v_cndmask_b32_e32 v38, v4, v10, vcc_lo
.LBB0_4:                                ;   in Loop: Header=BB0_2 Depth=1
	s_andn2_saveexec_b32 s0, s1
	s_cbranch_execz .LBB0_6
; %bb.5:                                ;   in Loop: Header=BB0_2 Depth=1
	v_cvt_f32_u32_e32 v4, s24
	s_sub_i32 s1, 0, s24
	v_mov_b32_e32 v39, v3
	v_rcp_iflag_f32_e32 v4, v4
	v_mul_f32_e32 v4, 0x4f7ffffe, v4
	v_cvt_u32_f32_e32 v4, v4
	v_mul_lo_u32 v7, s1, v4
	v_mul_hi_u32 v7, v4, v7
	v_add_nc_u32_e32 v4, v4, v7
	v_mul_hi_u32 v4, v5, v4
	v_mul_lo_u32 v7, v4, s24
	v_add_nc_u32_e32 v8, 1, v4
	v_sub_nc_u32_e32 v7, v5, v7
	v_subrev_nc_u32_e32 v9, s24, v7
	v_cmp_le_u32_e32 vcc_lo, s24, v7
	v_cndmask_b32_e32 v7, v7, v9, vcc_lo
	v_cndmask_b32_e32 v4, v4, v8, vcc_lo
	v_cmp_le_u32_e32 vcc_lo, s24, v7
	v_add_nc_u32_e32 v8, 1, v4
	v_cndmask_b32_e32 v38, v4, v8, vcc_lo
.LBB0_6:                                ;   in Loop: Header=BB0_2 Depth=1
	s_or_b32 exec_lo, exec_lo, s0
	v_mul_lo_u32 v4, v39, s24
	v_mul_lo_u32 v9, v38, s25
	s_load_dwordx2 s[0:1], s[6:7], 0x0
	v_mad_u64_u32 v[7:8], null, v38, s24, 0
	s_load_dwordx2 s[24:25], s[2:3], 0x0
	s_add_u32 s22, s22, 1
	s_addc_u32 s23, s23, 0
	s_add_u32 s2, s2, 8
	s_addc_u32 s3, s3, 0
	s_add_u32 s6, s6, 8
	v_add3_u32 v4, v8, v9, v4
	v_sub_co_u32 v5, vcc_lo, v5, v7
	s_addc_u32 s7, s7, 0
	s_add_u32 s20, s20, 8
	v_sub_co_ci_u32_e32 v4, vcc_lo, v6, v4, vcc_lo
	s_addc_u32 s21, s21, 0
	s_waitcnt lgkmcnt(0)
	v_mul_lo_u32 v6, s0, v4
	v_mul_lo_u32 v7, s1, v5
	v_mad_u64_u32 v[1:2], null, s0, v5, v[1:2]
	v_mul_lo_u32 v4, s24, v4
	v_mul_lo_u32 v8, s25, v5
	v_mad_u64_u32 v[36:37], null, s24, v5, v[36:37]
	v_cmp_ge_u64_e64 s0, s[22:23], s[14:15]
	v_add3_u32 v2, v7, v2, v6
	v_add3_u32 v37, v8, v37, v4
	s_and_b32 vcc_lo, exec_lo, s0
	s_cbranch_vccnz .LBB0_9
; %bb.7:                                ;   in Loop: Header=BB0_2 Depth=1
	v_mov_b32_e32 v5, v38
	v_mov_b32_e32 v6, v39
	s_branch .LBB0_2
.LBB0_8:
	v_mov_b32_e32 v37, v2
	v_mov_b32_e32 v39, v6
	;; [unrolled: 1-line block ×4, first 2 shown]
.LBB0_9:
	s_load_dwordx2 s[0:1], s[4:5], 0x28
	v_mul_hi_u32 v3, 0x15e75bc, v0
	s_lshl_b64 s[4:5], s[14:15], 3
                                        ; implicit-def: $vgpr40
	s_add_u32 s2, s18, s4
	s_addc_u32 s3, s19, s5
	s_waitcnt lgkmcnt(0)
	v_cmp_gt_u64_e32 vcc_lo, s[0:1], v[38:39]
	v_cmp_le_u64_e64 s0, s[0:1], v[38:39]
	s_and_saveexec_b32 s1, s0
	s_xor_b32 s0, exec_lo, s1
; %bb.10:
	v_mul_u32_u24_e32 v1, 0xbb, v3
                                        ; implicit-def: $vgpr3
	v_sub_nc_u32_e32 v40, v0, v1
                                        ; implicit-def: $vgpr0
                                        ; implicit-def: $vgpr1_vgpr2
; %bb.11:
	s_or_saveexec_b32 s1, s0
	s_load_dwordx2 s[2:3], s[2:3], 0x0
	s_xor_b32 exec_lo, exec_lo, s1
	s_cbranch_execz .LBB0_15
; %bb.12:
	s_add_u32 s4, s16, s4
	s_addc_u32 s5, s17, s5
	v_lshlrev_b64 v[1:2], 3, v[1:2]
	s_load_dwordx2 s[4:5], s[4:5], 0x0
	s_waitcnt lgkmcnt(0)
	v_mul_lo_u32 v6, s5, v38
	v_mul_lo_u32 v7, s4, v39
	v_mad_u64_u32 v[4:5], null, s4, v38, 0
	s_mov_b32 s4, exec_lo
	v_add3_u32 v5, v5, v7, v6
	v_mul_u32_u24_e32 v6, 0xbb, v3
	v_lshlrev_b64 v[3:4], 3, v[4:5]
	v_sub_nc_u32_e32 v40, v0, v6
	v_lshlrev_b32_e32 v18, 3, v40
	v_add_co_u32 v0, s0, s8, v3
	v_add_co_ci_u32_e64 v3, s0, s9, v4, s0
	v_add_co_u32 v0, s0, v0, v1
	v_add_co_ci_u32_e64 v1, s0, v3, v2, s0
	;; [unrolled: 2-line block ×3, first 2 shown]
	v_add_nc_u32_e32 v18, 0, v18
	v_add_co_u32 v4, s0, 0x800, v2
	v_add_co_ci_u32_e64 v5, s0, 0, v3, s0
	v_add_co_u32 v6, s0, 0x1000, v2
	v_add_co_ci_u32_e64 v7, s0, 0, v3, s0
	;; [unrolled: 2-line block ×5, first 2 shown]
	s_clause 0x7
	global_load_dwordx2 v[14:15], v[2:3], off
	global_load_dwordx2 v[2:3], v[2:3], off offset:1496
	global_load_dwordx2 v[4:5], v[4:5], off offset:944
	;; [unrolled: 1-line block ×7, first 2 shown]
	v_add_nc_u32_e32 v19, 0xa00, v18
	v_add_nc_u32_e32 v20, 0x1600, v18
	;; [unrolled: 1-line block ×3, first 2 shown]
	s_waitcnt vmcnt(6)
	ds_write2_b64 v18, v[14:15], v[2:3] offset1:187
	s_waitcnt vmcnt(4)
	ds_write2_b64 v19, v[4:5], v[16:17] offset0:54 offset1:241
	s_waitcnt vmcnt(2)
	ds_write2_b64 v20, v[6:7], v[8:9] offset0:44 offset1:231
	;; [unrolled: 2-line block ×3, first 2 shown]
	v_cmpx_eq_u32_e32 0xba, v40
	s_cbranch_execz .LBB0_14
; %bb.13:
	v_add_co_u32 v0, s0, 0x2800, v0
	v_add_co_ci_u32_e64 v1, s0, 0, v1, s0
	v_mov_b32_e32 v2, 0
	v_mov_b32_e32 v40, 0xba
	global_load_dwordx2 v[0:1], v[0:1], off offset:1728
	s_waitcnt vmcnt(0)
	ds_write_b64 v2, v[0:1] offset:11968
.LBB0_14:
	s_or_b32 exec_lo, exec_lo, s4
.LBB0_15:
	s_or_b32 exec_lo, exec_lo, s1
	v_lshlrev_b32_e32 v0, 3, v40
	s_waitcnt lgkmcnt(0)
	s_barrier
	buffer_gl0_inv
	s_add_u32 s1, s12, 0x2e38
	v_add_nc_u32_e32 v49, 0, v0
	v_sub_nc_u32_e32 v4, 0, v0
	s_addc_u32 s4, s13, 0
	s_mov_b32 s5, exec_lo
                                        ; implicit-def: $vgpr2_vgpr3
	ds_read_b32 v5, v49
	ds_read_b32 v6, v4 offset:11968
	s_waitcnt lgkmcnt(0)
	v_add_f32_e32 v0, v6, v5
	v_sub_f32_e32 v1, v5, v6
	v_cmpx_ne_u32_e32 0, v40
	s_xor_b32 s5, exec_lo, s5
	s_cbranch_execz .LBB0_17
; %bb.16:
	v_mov_b32_e32 v41, 0
	v_add_f32_e32 v7, v6, v5
	v_sub_f32_e32 v8, v5, v6
	v_lshlrev_b64 v[0:1], 3, v[40:41]
	v_add_co_u32 v0, s0, s1, v0
	v_add_co_ci_u32_e64 v1, s0, s4, v1, s0
	global_load_dwordx2 v[2:3], v[0:1], off
	ds_read_b32 v0, v4 offset:11972
	ds_read_b32 v1, v49 offset:4
	s_waitcnt lgkmcnt(0)
	v_add_f32_e32 v9, v0, v1
	v_sub_f32_e32 v0, v1, v0
	s_waitcnt vmcnt(0)
	v_fma_f32 v5, -v8, v3, v7
	v_fma_f32 v6, v9, v3, -v0
	v_fma_f32 v10, v8, v3, v7
	v_fma_f32 v1, v9, v3, v0
	v_fmac_f32_e32 v5, v2, v9
	v_fmac_f32_e32 v6, v8, v2
	v_fma_f32 v0, -v2, v9, v10
	v_fmac_f32_e32 v1, v8, v2
	v_mov_b32_e32 v2, v40
	v_mov_b32_e32 v3, v41
	ds_write_b64 v4, v[5:6] offset:11968
.LBB0_17:
	s_andn2_saveexec_b32 s0, s5
	s_cbranch_execz .LBB0_19
; %bb.18:
	v_mov_b32_e32 v7, 0
	ds_read_b64 v[2:3], v7 offset:5984
	s_waitcnt lgkmcnt(0)
	v_add_f32_e32 v5, v2, v2
	v_mul_f32_e32 v6, -2.0, v3
	v_mov_b32_e32 v2, 0
	v_mov_b32_e32 v3, 0
	ds_write_b64 v7, v[5:6] offset:5984
.LBB0_19:
	s_or_b32 exec_lo, exec_lo, s0
	v_lshlrev_b64 v[2:3], 3, v[2:3]
	ds_write_b64 v49, v[0:1]
	v_add_co_u32 v2, s0, s1, v2
	v_add_co_ci_u32_e64 v3, s0, s4, v3, s0
	s_mov_b32 s1, exec_lo
	v_add_co_u32 v7, s0, 0x800, v2
	global_load_dwordx2 v[5:6], v[2:3], off offset:1496
	v_add_co_ci_u32_e64 v8, s0, 0, v3, s0
	v_add_co_u32 v2, s0, 0x1000, v2
	v_add_co_ci_u32_e64 v3, s0, 0, v3, s0
	s_clause 0x1
	global_load_dwordx2 v[7:8], v[7:8], off offset:944
	global_load_dwordx2 v[2:3], v[2:3], off offset:392
	ds_read_b64 v[0:1], v49 offset:1496
	ds_read_b64 v[9:10], v4 offset:10472
	s_waitcnt lgkmcnt(0)
	v_add_f32_e32 v11, v0, v9
	v_add_f32_e32 v12, v10, v1
	v_sub_f32_e32 v13, v0, v9
	v_sub_f32_e32 v0, v1, v10
	s_waitcnt vmcnt(2)
	v_fma_f32 v14, v13, v6, v11
	v_fma_f32 v1, v12, v6, v0
	v_fma_f32 v9, -v13, v6, v11
	v_fma_f32 v10, v12, v6, -v0
	v_fma_f32 v0, -v5, v12, v14
	v_fmac_f32_e32 v1, v13, v5
	v_fmac_f32_e32 v9, v5, v12
	;; [unrolled: 1-line block ×3, first 2 shown]
	ds_write_b64 v49, v[0:1] offset:1496
	ds_write_b64 v4, v[9:10] offset:10472
	ds_read_b64 v[0:1], v49 offset:2992
	ds_read_b64 v[5:6], v4 offset:8976
	s_waitcnt lgkmcnt(0)
	v_add_f32_e32 v9, v0, v5
	v_add_f32_e32 v10, v6, v1
	v_sub_f32_e32 v11, v0, v5
	v_sub_f32_e32 v0, v1, v6
	s_waitcnt vmcnt(1)
	v_fma_f32 v12, v11, v8, v9
	v_fma_f32 v1, v10, v8, v0
	v_fma_f32 v5, -v11, v8, v9
	v_fma_f32 v6, v10, v8, -v0
	v_fma_f32 v0, -v7, v10, v12
	v_fmac_f32_e32 v1, v11, v7
	v_fmac_f32_e32 v5, v7, v10
	;; [unrolled: 1-line block ×3, first 2 shown]
	ds_write_b64 v49, v[0:1] offset:2992
	ds_write_b64 v4, v[5:6] offset:8976
	ds_read_b64 v[0:1], v49 offset:4488
	ds_read_b64 v[5:6], v4 offset:7480
	s_waitcnt lgkmcnt(0)
	v_add_f32_e32 v7, v0, v5
	v_add_f32_e32 v8, v6, v1
	v_sub_f32_e32 v9, v0, v5
	v_sub_f32_e32 v0, v1, v6
	s_waitcnt vmcnt(0)
	v_fma_f32 v10, v9, v3, v7
	v_fma_f32 v1, v8, v3, v0
	v_fma_f32 v5, -v9, v3, v7
	v_fma_f32 v6, v8, v3, -v0
	v_add_nc_u32_e32 v3, 0x2400, v49
	v_fma_f32 v0, -v2, v8, v10
	v_fmac_f32_e32 v1, v9, v2
	v_fmac_f32_e32 v5, v2, v8
	;; [unrolled: 1-line block ×3, first 2 shown]
	v_add_nc_u32_e32 v2, 0x400, v49
	ds_write_b64 v49, v[0:1] offset:4488
	ds_write_b64 v4, v[5:6] offset:7480
	s_waitcnt lgkmcnt(0)
	s_barrier
	buffer_gl0_inv
	s_barrier
	buffer_gl0_inv
	ds_read2_b64 v[4:7], v49 offset1:88
	ds_read_b64 v[45:46], v49 offset:11264
	ds_read2_b64 v[12:15], v2 offset0:48 offset1:136
	ds_read2_b64 v[8:11], v3 offset0:80 offset1:168
	v_add_nc_u32_e32 v0, 0x800, v49
	v_add_nc_u32_e32 v1, 0x2000, v49
	ds_read2_b64 v[20:23], v0 offset0:96 offset1:184
	ds_read2_b64 v[16:19], v1 offset0:32 offset1:120
	v_add_nc_u32_e32 v2, 0x1000, v49
	v_add_nc_u32_e32 v0, 0x1800, v49
	;; [unrolled: 1-line block ×3, first 2 shown]
	ds_read2_b64 v[32:35], v2 offset0:16 offset1:104
	ds_read2_b64 v[24:27], v0 offset0:112 offset1:200
	;; [unrolled: 1-line block ×3, first 2 shown]
	s_waitcnt lgkmcnt(0)
	s_barrier
	buffer_gl0_inv
	v_sub_f32_e32 v75, v6, v45
	v_sub_f32_e32 v67, v7, v46
	v_add_f32_e32 v62, v45, v6
	v_add_f32_e32 v65, v46, v7
	v_sub_f32_e32 v76, v12, v10
	v_sub_f32_e32 v71, v13, v11
	v_mul_f32_e32 v88, 0xbf06c442, v67
	v_mul_f32_e32 v93, 0xbf06c442, v75
	;; [unrolled: 1-line block ×4, first 2 shown]
	v_add_f32_e32 v60, v10, v12
	v_add_f32_e32 v63, v11, v13
	v_sub_f32_e32 v77, v14, v8
	v_sub_f32_e32 v69, v15, v9
	v_mul_f32_e32 v87, 0x3f65296c, v71
	v_mul_f32_e32 v92, 0x3f65296c, v76
	;; [unrolled: 1-line block ×4, first 2 shown]
	v_fmamk_f32 v104, v62, 0xbf59a7d5, v88
	v_fma_f32 v105, 0xbf59a7d5, v65, -v93
	v_fma_f32 v120, 0xbf7ba420, v62, -v0
	v_fmamk_f32 v122, v65, 0xbf7ba420, v2
	v_fmac_f32_e32 v0, 0xbf7ba420, v62
	v_fma_f32 v2, 0xbf7ba420, v65, -v2
	v_add_f32_e32 v57, v8, v14
	v_add_f32_e32 v61, v9, v15
	v_sub_f32_e32 v78, v20, v18
	v_sub_f32_e32 v72, v21, v19
	v_mul_f32_e32 v85, 0xbf7ee86f, v69
	v_mul_f32_e32 v91, 0xbf7ee86f, v77
	v_mul_f32_e32 v41, 0xbf06c442, v69
	v_mul_f32_e32 v42, 0xbf06c442, v77
	v_fmamk_f32 v106, v60, 0x3ee437d1, v87
	v_fma_f32 v107, 0x3ee437d1, v63, -v92
	v_fma_f32 v121, 0x3f6eb680, v60, -v1
	v_fmamk_f32 v123, v63, 0x3f6eb680, v3
	v_fmac_f32_e32 v1, 0x3f6eb680, v60
	v_fma_f32 v3, 0x3f6eb680, v63, -v3
	v_add_f32_e32 v104, v4, v104
	v_add_f32_e32 v105, v5, v105
	v_add_f32_e32 v120, v4, v120
	v_add_f32_e32 v122, v5, v122
	v_add_f32_e32 v0, v4, v0
	v_add_f32_e32 v2, v5, v2
	v_add_f32_e32 v54, v18, v20
	v_add_f32_e32 v59, v19, v21
	v_sub_f32_e32 v79, v22, v16
	v_sub_f32_e32 v74, v23, v17
	v_mul_f32_e32 v83, 0x3f4c4adb, v72
	v_mul_f32_e32 v90, 0x3f4c4adb, v78
	v_mul_f32_e32 v94, 0x3f2c7751, v72
	v_mul_f32_e32 v95, 0x3f2c7751, v78
	v_fmamk_f32 v108, v57, 0x3dbcf732, v85
	v_fma_f32 v109, 0x3dbcf732, v61, -v91
	v_fma_f32 v124, 0xbf59a7d5, v57, -v41
	v_fmamk_f32 v125, v61, 0xbf59a7d5, v42
	v_fmac_f32_e32 v41, 0xbf59a7d5, v57
	v_fma_f32 v42, 0xbf59a7d5, v61, -v42
	v_add_f32_e32 v104, v106, v104
	v_add_f32_e32 v105, v107, v105
	v_add_f32_e32 v106, v121, v120
	v_add_f32_e32 v107, v123, v122
	v_add_f32_e32 v0, v1, v0
	v_add_f32_e32 v1, v3, v2
	;; [unrolled: 20-line block ×5, first 2 shown]
	v_add_f32_e32 v58, v30, v28
	v_add_f32_e32 v64, v31, v29
	v_mul_f32_e32 v43, 0xbf763a35, v66
	v_mul_f32_e32 v48, 0xbf763a35, v68
	;; [unrolled: 1-line block ×4, first 2 shown]
	v_fmamk_f32 v116, v50, 0x3f3d2fb0, v44
	v_fma_f32 v117, 0x3f3d2fb0, v53, -v84
	v_fma_f32 v132, 0xbe8c1d8e, v50, -v100
	v_fmamk_f32 v133, v53, 0xbe8c1d8e, v101
	v_fmac_f32_e32 v100, 0xbe8c1d8e, v50
	v_fma_f32 v101, 0xbe8c1d8e, v53, -v101
	v_add_f32_e32 v2, v114, v2
	v_add_f32_e32 v3, v115, v3
	v_add_f32_e32 v41, v130, v41
	v_add_f32_e32 v42, v131, v42
	v_add_f32_e32 v0, v98, v0
	v_add_f32_e32 v1, v99, v1
	v_fmamk_f32 v118, v58, 0xbe8c1d8e, v43
	v_fma_f32 v119, 0xbe8c1d8e, v64, -v48
	v_fma_f32 v134, 0x3dbcf732, v58, -v102
	v_fmamk_f32 v135, v64, 0x3dbcf732, v103
	v_fmac_f32_e32 v102, 0x3dbcf732, v58
	v_fma_f32 v103, 0x3dbcf732, v64, -v103
	v_add_f32_e32 v2, v116, v2
	v_add_f32_e32 v3, v117, v3
	;; [unrolled: 1-line block ×12, first 2 shown]
	v_cmpx_gt_u32_e32 0x58, v40
	s_cbranch_execz .LBB0_21
; %bb.20:
	v_mul_f32_e32 v94, 0xbf59a7d5, v65
	v_mul_f32_e32 v97, 0x3ee437d1, v63
	;; [unrolled: 1-line block ×5, first 2 shown]
	v_add_f32_e32 v93, v93, v94
	v_mul_f32_e32 v94, 0x3dbcf732, v61
	v_add_f32_e32 v92, v92, v97
	v_mul_f32_e32 v101, 0x3f6eb680, v56
	v_add_f32_e32 v90, v90, v100
	v_add_f32_e32 v93, v5, v93
	;; [unrolled: 1-line block ×3, first 2 shown]
	v_sub_f32_e32 v88, v95, v88
	v_mul_f32_e32 v98, 0x3dbcf732, v57
	v_add_f32_e32 v89, v89, v101
	v_add_f32_e32 v92, v92, v93
	v_mul_f32_e32 v93, 0xbf7ba420, v55
	v_sub_f32_e32 v87, v96, v87
	v_mul_f32_e32 v99, 0xbf1a4643, v54
	v_sub_f32_e32 v85, v98, v85
	v_add_f32_e32 v91, v91, v92
	v_add_f32_e32 v86, v86, v93
	v_mul_f32_e32 v97, 0x3f6eb680, v52
	v_mul_f32_e32 v103, 0x3f3d2fb0, v53
	v_sub_f32_e32 v83, v99, v83
	v_add_f32_e32 v90, v90, v91
	v_add_f32_e32 v91, v4, v88
	v_mul_f32_e32 v88, 0xbf4c4adb, v75
	v_mul_f32_e32 v102, 0xbf7ba420, v51
	v_add_f32_e32 v84, v84, v103
	v_add_f32_e32 v90, v89, v90
	;; [unrolled: 1-line block ×3, first 2 shown]
	v_fmamk_f32 v93, v65, 0xbf1a4643, v88
	v_mul_f32_e32 v89, 0x3f763a35, v76
	v_sub_f32_e32 v82, v97, v82
	v_add_f32_e32 v90, v86, v90
	v_add_f32_e32 v85, v85, v87
	;; [unrolled: 1-line block ×3, first 2 shown]
	v_fmamk_f32 v93, v63, 0xbe8c1d8e, v89
	v_mul_f32_e32 v87, 0xbeb8f4ab, v77
	v_mul_f32_e32 v94, 0x3f3d2fb0, v50
	v_add_f32_e32 v83, v83, v85
	v_mul_f32_e32 v91, 0xbe8c1d8e, v64
	v_add_f32_e32 v85, v93, v86
	v_fmamk_f32 v93, v61, 0x3f6eb680, v87
	v_mul_f32_e32 v86, 0xbf06c442, v78
	v_add_f32_e32 v84, v84, v90
	v_add_f32_e32 v83, v82, v83
	v_sub_f32_e32 v47, v102, v47
	v_add_f32_e32 v85, v93, v85
	v_fmamk_f32 v90, v59, 0xbf59a7d5, v86
	v_mul_f32_e32 v82, 0x3f7ee86f, v79
	v_mul_f32_e32 v92, 0xbe8c1d8e, v58
	v_add_f32_e32 v48, v48, v91
	v_add_f32_e32 v47, v47, v83
	v_sub_f32_e32 v91, v94, v44
	v_add_f32_e32 v85, v90, v85
	v_fmamk_f32 v90, v56, 0x3dbcf732, v82
	v_mul_f32_e32 v94, 0xbf4c4adb, v67
	v_add_f32_e32 v44, v48, v84
	v_add_f32_e32 v47, v91, v47
	v_sub_f32_e32 v43, v92, v43
	v_add_f32_e32 v48, v90, v85
	v_fma_f32 v90, 0xbf1a4643, v62, -v94
	v_mul_f32_e32 v96, 0x3f763a35, v71
	v_mul_f32_e32 v99, 0xbf763a35, v75
	v_add_f32_e32 v43, v43, v47
	v_mul_f32_e32 v83, 0xbf2c7751, v80
	v_add_f32_e32 v47, v4, v90
	v_fma_f32 v91, 0xbe8c1d8e, v60, -v96
	v_mul_f32_e32 v90, 0xbeb8f4ab, v69
	v_mul_f32_e32 v92, 0xbf06c442, v72
	v_fmamk_f32 v93, v65, 0xbe8c1d8e, v99
	v_mul_f32_e32 v100, 0x3f06c442, v76
	v_add_f32_e32 v47, v91, v47
	v_fma_f32 v91, 0x3f6eb680, v57, -v90
	v_fmamk_f32 v85, v55, 0x3f3d2fb0, v83
	v_mul_f32_e32 v84, 0xbe3c28d5, v81
	v_mul_f32_e32 v95, 0x3f7ee86f, v74
	v_add_f32_e32 v93, v5, v93
	v_add_f32_e32 v47, v91, v47
	v_fma_f32 v91, 0xbf59a7d5, v54, -v92
	v_fmamk_f32 v98, v63, 0xbf59a7d5, v100
	v_mul_f32_e32 v101, 0x3f2c7751, v77
	v_add_f32_e32 v48, v85, v48
	v_fmamk_f32 v85, v53, 0xbf7ba420, v84
	v_add_f32_e32 v47, v91, v47
	v_fma_f32 v91, 0x3dbcf732, v52, -v95
	v_mul_f32_e32 v97, 0xbf2c7751, v70
	v_add_f32_e32 v93, v98, v93
	v_fmamk_f32 v103, v61, 0x3f3d2fb0, v101
	v_mul_f32_e32 v102, 0xbf65296c, v78
	v_add_f32_e32 v48, v85, v48
	v_mul_f32_e32 v85, 0x3f65296c, v68
	v_add_f32_e32 v47, v91, v47
	v_fma_f32 v91, 0x3f3d2fb0, v51, -v97
	v_mul_f32_e32 v98, 0xbe3c28d5, v73
	v_add_f32_e32 v93, v103, v93
	v_fmamk_f32 v105, v59, 0x3ee437d1, v102
	v_mul_f32_e32 v103, 0xbe3c28d5, v79
	v_fmamk_f32 v104, v64, 0x3ee437d1, v85
	v_add_f32_e32 v47, v91, v47
	v_fma_f32 v106, 0xbf7ba420, v50, -v98
	v_mul_f32_e32 v91, 0x3f65296c, v66
	v_add_f32_e32 v105, v105, v93
	v_fmamk_f32 v107, v56, 0xbf7ba420, v103
	v_mul_f32_e32 v93, 0x3f7ee86f, v80
	v_add_f32_e32 v6, v4, v6
	v_add_f32_e32 v48, v104, v48
	;; [unrolled: 1-line block ×3, first 2 shown]
	v_fma_f32 v104, 0x3ee437d1, v58, -v91
	v_add_f32_e32 v105, v107, v105
	v_fmamk_f32 v106, v55, 0x3dbcf732, v93
	v_add_f32_e32 v7, v5, v7
	v_mul_f32_e32 v107, 0xbf763a35, v67
	v_add_f32_e32 v6, v6, v12
	v_add_f32_e32 v47, v104, v47
	;; [unrolled: 1-line block ×3, first 2 shown]
	v_mul_f32_e32 v105, 0xbeb8f4ab, v81
	v_fma_f32 v106, 0xbe8c1d8e, v62, -v107
	v_mul_f32_e32 v108, 0x3f06c442, v71
	v_add_f32_e32 v7, v7, v13
	v_add_f32_e32 v6, v6, v14
	v_fmamk_f32 v12, v53, 0x3f6eb680, v105
	v_add_f32_e32 v13, v4, v106
	v_fma_f32 v106, 0xbf59a7d5, v60, -v108
	v_mul_f32_e32 v109, 0x3f2c7751, v69
	v_add_f32_e32 v7, v7, v15
	v_add_f32_e32 v6, v6, v20
	;; [unrolled: 1-line block ×4, first 2 shown]
	v_fma_f32 v14, 0x3f3d2fb0, v57, -v109
	v_mul_f32_e32 v104, 0xbf65296c, v72
	v_add_f32_e32 v7, v7, v21
	v_add_f32_e32 v6, v6, v22
	v_mul_f32_e32 v21, 0xbe3c28d5, v74
	v_add_f32_e32 v13, v14, v13
	v_fma_f32 v14, 0x3ee437d1, v54, -v104
	v_add_f32_e32 v7, v7, v23
	v_mul_f32_e32 v22, 0xbf7ee86f, v75
	v_add_f32_e32 v6, v6, v32
	v_mul_f32_e32 v20, 0xbf4c4adb, v68
	v_add_f32_e32 v13, v14, v13
	v_add_f32_e32 v7, v7, v33
	v_fma_f32 v14, 0xbf7ba420, v52, -v21
	v_fmamk_f32 v15, v65, 0x3dbcf732, v22
	v_mul_f32_e32 v23, 0xbe3c28d5, v76
	v_add_f32_e32 v6, v6, v34
	v_add_f32_e32 v32, v7, v35
	v_fmamk_f32 v7, v64, 0xbf1a4643, v20
	v_add_f32_e32 v13, v14, v13
	v_add_f32_e32 v14, v5, v15
	v_fmamk_f32 v15, v63, 0xbf7ba420, v23
	v_mul_f32_e32 v35, 0x3f763a35, v77
	v_add_f32_e32 v6, v6, v28
	v_add_f32_e32 v7, v7, v12
	v_mul_f32_e32 v28, 0x3eb8f4ab, v78
	v_add_f32_e32 v12, v15, v14
	v_fmamk_f32 v14, v61, 0xbe8c1d8e, v35
	v_add_f32_e32 v15, v32, v29
	v_add_f32_e32 v6, v6, v30
	v_mul_f32_e32 v30, 0xbf7ee86f, v67
	v_mul_f32_e32 v33, 0x3f7ee86f, v70
	v_add_f32_e32 v12, v14, v12
	v_add_f32_e32 v14, v15, v31
	v_fmamk_f32 v15, v59, 0x3f6eb680, v28
	v_add_f32_e32 v6, v6, v24
	v_mul_f32_e32 v24, 0xbe3c28d5, v71
	v_fma_f32 v106, 0x3dbcf732, v51, -v33
	v_add_f32_e32 v14, v14, v25
	v_add_f32_e32 v12, v15, v12
	v_fma_f32 v15, 0x3dbcf732, v62, -v30
	v_add_f32_e32 v6, v6, v26
	v_mul_f32_e32 v25, 0xbf65296c, v79
	v_add_f32_e32 v14, v14, v27
	v_fma_f32 v26, 0xbf7ba420, v60, -v24
	v_add_f32_e32 v15, v4, v15
	v_mul_f32_e32 v27, 0x3f763a35, v69
	v_add_f32_e32 v6, v6, v16
	v_add_f32_e32 v14, v14, v17
	v_fmamk_f32 v16, v56, 0x3ee437d1, v25
	v_add_f32_e32 v15, v26, v15
	v_fma_f32 v17, 0xbe8c1d8e, v57, -v27
	v_add_f32_e32 v6, v6, v18
	v_mul_f32_e32 v26, 0x3eb8f4ab, v72
	v_add_f32_e32 v13, v106, v13
	v_mul_f32_e32 v29, 0xbeb8f4ab, v73
	v_add_f32_e32 v12, v16, v12
	v_add_f32_e32 v15, v17, v15
	v_fma_f32 v16, 0x3f6eb680, v54, -v26
	v_mul_f32_e32 v106, 0xbf65296c, v74
	v_add_f32_e32 v6, v6, v8
	v_mul_f32_e32 v110, 0xbf65296c, v75
	v_fma_f32 v31, 0x3f6eb680, v50, -v29
	v_add_f32_e32 v14, v14, v19
	v_mul_f32_e32 v32, 0xbf4c4adb, v66
	v_add_f32_e32 v15, v16, v15
	v_fma_f32 v16, 0x3ee437d1, v52, -v106
	v_add_f32_e32 v10, v6, v10
	v_fmamk_f32 v6, v65, 0x3ee437d1, v110
	v_mul_f32_e32 v112, 0xbf4c4adb, v76
	v_mul_f32_e32 v34, 0xbf06c442, v80
	v_add_f32_e32 v13, v31, v13
	v_fma_f32 v18, 0xbf1a4643, v58, -v32
	v_add_f32_e32 v9, v14, v9
	v_mul_f32_e32 v31, 0xbf06c442, v70
	v_add_f32_e32 v8, v16, v15
	v_add_f32_e32 v15, v5, v6
	v_fmamk_f32 v16, v63, 0xbf1a4643, v112
	v_mul_f32_e32 v116, 0xbf65296c, v67
	v_fmamk_f32 v17, v55, 0xbf59a7d5, v34
	v_add_f32_e32 v9, v9, v11
	v_fma_f32 v11, 0xbf59a7d5, v51, -v31
	v_mul_f32_e32 v113, 0x3f4c4adb, v73
	v_mul_f32_e32 v115, 0x3e3c28d5, v77
	v_add_f32_e32 v6, v18, v13
	v_add_f32_e32 v13, v16, v15
	v_fma_f32 v16, 0x3ee437d1, v62, -v116
	v_mul_f32_e32 v119, 0xbf4c4adb, v71
	v_add_f32_e32 v12, v17, v12
	v_mul_f32_e32 v111, 0x3f4c4adb, v81
	v_add_f32_e32 v8, v11, v8
	v_fma_f32 v11, 0xbf1a4643, v50, -v113
	v_fmamk_f32 v15, v61, 0xbf7ba420, v115
	v_mul_f32_e32 v117, 0x3f763a35, v78
	v_add_f32_e32 v16, v4, v16
	v_fma_f32 v17, 0xbf1a4643, v60, -v119
	v_mul_f32_e32 v121, 0x3e3c28d5, v69
	v_fmamk_f32 v14, v53, 0xbf1a4643, v111
	v_mul_f32_e32 v114, 0x3f2c7751, v68
	v_add_f32_e32 v13, v15, v13
	v_fmamk_f32 v15, v59, 0xbe8c1d8e, v117
	v_mul_f32_e32 v120, 0x3f2c7751, v79
	v_add_f32_e32 v18, v11, v8
	v_add_f32_e32 v8, v10, v45
	;; [unrolled: 1-line block ×3, first 2 shown]
	v_fma_f32 v11, 0xbf7ba420, v57, -v121
	v_mul_f32_e32 v45, 0x3f763a35, v72
	v_add_f32_e32 v12, v14, v12
	v_fmamk_f32 v14, v64, 0x3f3d2fb0, v114
	v_add_f32_e32 v9, v9, v46
	v_add_f32_e32 v13, v15, v13
	v_fmamk_f32 v15, v56, 0x3f3d2fb0, v120
	v_mul_f32_e32 v46, 0xbeb8f4ab, v80
	v_add_f32_e32 v10, v11, v10
	v_fma_f32 v16, 0xbe8c1d8e, v54, -v45
	v_mul_f32_e32 v122, 0x3f2c7751, v74
	v_add_f32_e32 v11, v14, v12
	v_add_f32_e32 v12, v15, v13
	v_mul_f32_e32 v123, 0xbeb8f4ab, v70
	v_add_f32_e32 v13, v16, v10
	v_fma_f32 v14, 0x3f3d2fb0, v52, -v122
	v_fmamk_f32 v15, v55, 0x3f6eb680, v46
	v_mul_f32_e32 v124, 0xbf7ee86f, v81
	v_mul_f32_e32 v125, 0xbf7ee86f, v73
	;; [unrolled: 1-line block ×3, first 2 shown]
	v_add_f32_e32 v13, v14, v13
	v_fma_f32 v14, 0x3f6eb680, v51, -v123
	v_add_f32_e32 v12, v15, v12
	v_fmamk_f32 v15, v53, 0x3dbcf732, v124
	v_mul_f32_e32 v127, 0xbf06c442, v66
	v_mul_f32_e32 v128, 0xbf2c7751, v75
	v_add_f32_e32 v13, v14, v13
	v_fma_f32 v14, 0x3dbcf732, v50, -v125
	v_add_f32_e32 v12, v15, v12
	v_fmamk_f32 v15, v64, 0xbf59a7d5, v126
	v_mul_f32_e32 v118, 0x3f2c7751, v66
	v_fma_f32 v16, 0xbf59a7d5, v58, -v127
	v_add_f32_e32 v14, v14, v13
	v_mul_f32_e32 v129, 0xbf2c7751, v67
	v_add_f32_e32 v13, v15, v12
	v_fmamk_f32 v15, v65, 0x3f3d2fb0, v128
	v_mul_f32_e32 v130, 0xbf7ee86f, v76
	v_fma_f32 v17, 0x3f3d2fb0, v58, -v118
	v_add_f32_e32 v12, v16, v14
	v_fma_f32 v14, 0x3f3d2fb0, v62, -v129
	v_mul_f32_e32 v131, 0xbf7ee86f, v71
	v_add_f32_e32 v15, v5, v15
	v_fmamk_f32 v16, v63, 0x3dbcf732, v130
	v_mul_f32_e32 v132, 0xbf4c4adb, v77
	v_add_f32_e32 v10, v17, v18
	v_add_f32_e32 v14, v4, v14
	v_fma_f32 v17, 0x3dbcf732, v60, -v131
	v_mul_f32_e32 v133, 0xbf4c4adb, v69
	v_add_f32_e32 v15, v16, v15
	v_fmamk_f32 v16, v61, 0xbf1a4643, v132
	v_mul_f32_e32 v134, 0xbe3c28d5, v78
	v_add_f32_e32 v14, v17, v14
	v_fma_f32 v17, 0xbf1a4643, v57, -v133
	v_mul_f32_e32 v135, 0xbe3c28d5, v72
	v_add_f32_e32 v15, v16, v15
	v_fmamk_f32 v16, v59, 0xbf7ba420, v134
	v_mul_f32_e32 v136, 0x3f06c442, v79
	;; [unrolled: 6-line block ×6, first 2 shown]
	v_add_f32_e32 v14, v17, v14
	v_mul_f32_e32 v76, 0xbf2c7751, v76
	v_mul_f32_e32 v77, 0xbf65296c, v77
	v_add_f32_e32 v15, v16, v15
	v_fma_f32 v16, 0x3f6eb680, v58, -v143
	v_mul_f32_e32 v78, 0xbf7ee86f, v78
	v_fmamk_f32 v17, v63, 0x3f3d2fb0, v76
	v_mul_f32_e32 v79, 0xbf763a35, v79
	v_mul_f32_e32 v80, 0xbf4c4adb, v80
	v_add_f32_e32 v14, v16, v14
	v_fmamk_f32 v16, v65, 0x3f6eb680, v75
	v_mul_f32_e32 v81, 0xbf06c442, v81
	v_mul_f32_e32 v67, 0xbeb8f4ab, v67
	;; [unrolled: 1-line block ×4, first 2 shown]
	v_add_f32_e32 v16, v5, v16
	v_mul_f32_e32 v72, 0xbf7ee86f, v72
	v_mul_f32_e32 v74, 0xbf763a35, v74
	v_fma_f32 v18, 0x3f3d2fb0, v60, -v71
	v_mul_f32_e32 v70, 0xbf4c4adb, v70
	v_add_f32_e32 v16, v17, v16
	v_fmamk_f32 v17, v61, 0x3ee437d1, v77
	v_mul_f32_e32 v73, 0xbf06c442, v73
	v_fma_f32 v19, 0xbe8c1d8e, v63, -v89
	v_fmac_f32_e32 v94, 0xbf1a4643, v62
	v_mul_f32_e32 v68, 0xbe3c28d5, v68
	v_add_f32_e32 v16, v17, v16
	v_fmamk_f32 v17, v59, 0x3dbcf732, v78
	v_fmac_f32_e32 v96, 0xbe8c1d8e, v60
	v_mul_f32_e32 v66, 0xbe3c28d5, v66
	v_fmac_f32_e32 v90, 0x3f6eb680, v57
	v_fma_f32 v86, 0xbf59a7d5, v59, -v86
	v_add_f32_e32 v16, v17, v16
	v_fmamk_f32 v17, v56, 0xbe8c1d8e, v79
	v_fmac_f32_e32 v92, 0xbf59a7d5, v54
	v_fma_f32 v82, 0x3dbcf732, v56, -v82
	v_fmac_f32_e32 v95, 0x3dbcf732, v52
	v_fmac_f32_e32 v97, 0x3f3d2fb0, v51
	v_add_f32_e32 v16, v17, v16
	v_fmamk_f32 v17, v55, 0xbf1a4643, v80
	v_fmac_f32_e32 v98, 0xbf7ba420, v50
	v_fmac_f32_e32 v91, 0x3ee437d1, v58
	v_fmac_f32_e32 v107, 0xbe8c1d8e, v62
	v_fma_f32 v22, 0x3dbcf732, v65, -v22
	v_add_f32_e32 v16, v17, v16
	v_fmamk_f32 v17, v53, 0xbf59a7d5, v81
	v_fmac_f32_e32 v108, 0xbf59a7d5, v60
	v_fma_f32 v23, 0xbf7ba420, v63, -v23
	v_add_f32_e32 v22, v5, v22
	v_fmac_f32_e32 v30, 0x3dbcf732, v62
	v_add_f32_e32 v16, v17, v16
	v_fma_f32 v17, 0x3f6eb680, v62, -v67
	v_fmac_f32_e32 v109, 0x3f3d2fb0, v57
	v_add_f32_e32 v22, v23, v22
	v_fma_f32 v23, 0xbe8c1d8e, v61, -v35
	v_add_f32_e32 v30, v4, v30
	v_add_f32_e32 v17, v4, v17
	v_fmac_f32_e32 v24, 0xbf7ba420, v60
	v_fmac_f32_e32 v104, 0x3ee437d1, v54
	v_add_f32_e32 v22, v23, v22
	v_fma_f32 v23, 0x3f6eb680, v59, -v28
	v_add_f32_e32 v17, v18, v17
	v_fma_f32 v18, 0x3ee437d1, v57, -v69
	v_add_f32_e32 v24, v24, v30
	v_fmac_f32_e32 v27, 0xbe8c1d8e, v57
	v_fmac_f32_e32 v21, 0xbf7ba420, v52
	v_add_f32_e32 v22, v23, v22
	v_add_f32_e32 v17, v18, v17
	v_fma_f32 v18, 0x3dbcf732, v54, -v72
	v_fma_f32 v23, 0x3ee437d1, v56, -v25
	v_add_f32_e32 v24, v27, v24
	v_fmac_f32_e32 v26, 0x3f6eb680, v54
	v_fmac_f32_e32 v33, 0x3dbcf732, v51
	v_add_f32_e32 v17, v18, v17
	v_fma_f32 v18, 0xbe8c1d8e, v52, -v74
	v_add_f32_e32 v22, v23, v22
	v_fma_f32 v23, 0xbf59a7d5, v55, -v34
	v_fma_f32 v20, 0xbf1a4643, v64, -v20
	v_add_f32_e32 v24, v26, v24
	v_add_f32_e32 v17, v18, v17
	v_fma_f32 v18, 0xbf1a4643, v51, -v70
	v_fmac_f32_e32 v106, 0x3ee437d1, v52
	v_add_f32_e32 v22, v23, v22
	v_fmac_f32_e32 v29, 0x3f6eb680, v50
	v_fmac_f32_e32 v31, 0xbf59a7d5, v51
	v_add_f32_e32 v17, v18, v17
	v_fma_f32 v18, 0xbf59a7d5, v50, -v73
	v_add_f32_e32 v23, v106, v24
	v_fmac_f32_e32 v32, 0xbf1a4643, v58
	v_fmac_f32_e32 v113, 0xbf1a4643, v50
	v_fma_f32 v27, 0x3ee437d1, v65, -v110
	v_add_f32_e32 v18, v18, v17
	v_fma_f32 v17, 0xbf1a4643, v65, -v88
	v_fma_f32 v88, 0xbf7ba420, v58, -v66
	v_add_f32_e32 v26, v31, v23
	v_fmac_f32_e32 v116, 0x3ee437d1, v62
	v_fmac_f32_e32 v119, 0xbf1a4643, v60
	v_add_f32_e32 v17, v5, v17
	v_fmac_f32_e32 v121, 0xbf7ba420, v57
	v_fmac_f32_e32 v45, 0xbe8c1d8e, v54
	;; [unrolled: 1-line block ×4, first 2 shown]
	v_add_f32_e32 v17, v19, v17
	v_fma_f32 v19, 0x3f6eb680, v61, -v87
	v_add_f32_e32 v87, v4, v94
	v_fmac_f32_e32 v125, 0x3dbcf732, v50
	v_fmac_f32_e32 v127, 0xbf59a7d5, v58
	;; [unrolled: 1-line block ×3, first 2 shown]
	v_add_f32_e32 v19, v19, v17
	v_fmamk_f32 v17, v64, 0xbf7ba420, v68
	v_add_f32_e32 v87, v96, v87
	v_fmac_f32_e32 v67, 0x3f6eb680, v62
	v_fmac_f32_e32 v131, 0x3dbcf732, v60
	v_add_f32_e32 v19, v86, v19
	v_add_f32_e32 v17, v17, v16
	;; [unrolled: 1-line block ×3, first 2 shown]
	v_fma_f32 v18, 0xbe8c1d8e, v65, -v99
	v_add_f32_e32 v87, v90, v87
	v_fma_f32 v86, 0xbf59a7d5, v63, -v100
	v_add_f32_e32 v19, v82, v19
	;; [unrolled: 2-line block ×3, first 2 shown]
	v_add_f32_e32 v87, v92, v87
	v_fma_f32 v83, 0x3f3d2fb0, v61, -v101
	v_fmac_f32_e32 v71, 0x3f3d2fb0, v60
	v_add_f32_e32 v19, v82, v19
	v_add_f32_e32 v18, v86, v18
	;; [unrolled: 1-line block ×3, first 2 shown]
	v_fma_f32 v82, 0xbf7ba420, v53, -v84
	v_fmac_f32_e32 v133, 0xbf1a4643, v57
	v_fmac_f32_e32 v69, 0x3ee437d1, v57
	v_add_f32_e32 v18, v83, v18
	v_fma_f32 v83, 0x3ee437d1, v59, -v102
	v_add_f32_e32 v84, v97, v86
	v_add_f32_e32 v19, v82, v19
	v_fma_f32 v82, 0x3ee437d1, v64, -v85
	v_fmac_f32_e32 v135, 0xbf7ba420, v54
	v_add_f32_e32 v18, v83, v18
	v_fma_f32 v83, 0xbf7ba420, v56, -v103
	v_add_f32_e32 v84, v98, v84
	v_add_f32_e32 v19, v82, v19
	v_fmac_f32_e32 v72, 0x3dbcf732, v54
	v_fmac_f32_e32 v137, 0xbf59a7d5, v52
	v_add_f32_e32 v82, v83, v18
	v_add_f32_e32 v18, v91, v84
	;; [unrolled: 1-line block ×3, first 2 shown]
	v_fma_f32 v83, 0x3dbcf732, v55, -v93
	v_fmac_f32_e32 v74, 0xbe8c1d8e, v52
	v_fmac_f32_e32 v139, 0xbe8c1d8e, v51
	;; [unrolled: 1-line block ×3, first 2 shown]
	v_add_f32_e32 v84, v108, v84
	v_add_f32_e32 v82, v83, v82
	v_fma_f32 v83, 0x3f6eb680, v53, -v105
	v_fmac_f32_e32 v141, 0x3ee437d1, v50
	v_fmac_f32_e32 v73, 0xbf59a7d5, v50
	v_add_f32_e32 v35, v109, v84
	v_fmac_f32_e32 v118, 0x3f3d2fb0, v58
	v_add_f32_e32 v82, v83, v82
	v_fmac_f32_e32 v143, 0x3f6eb680, v58
	v_fma_f32 v30, 0xbf7ba420, v64, -v68
	v_add_f32_e32 v28, v104, v35
	v_fmac_f32_e32 v66, 0xbf7ba420, v58
	v_add_f32_e32 v21, v21, v28
	v_fma_f32 v28, 0x3dbcf732, v63, -v130
	v_add_f32_e32 v25, v33, v21
	v_add_f32_e32 v21, v20, v82
	v_fma_f32 v20, 0xbf1a4643, v53, -v111
	v_add_f32_e32 v24, v29, v25
	v_fma_f32 v25, 0x3f3d2fb0, v64, -v114
	v_add_f32_e32 v22, v20, v22
	v_add_f32_e32 v29, v4, v129
	;; [unrolled: 1-line block ×6, first 2 shown]
	v_fma_f32 v25, 0xbf1a4643, v63, -v112
	v_add_f32_e32 v26, v4, v116
	v_fma_f32 v27, 0x3f3d2fb0, v65, -v128
	v_add_f32_e32 v4, v4, v67
	v_add_f32_e32 v29, v131, v29
	;; [unrolled: 1-line block ×3, first 2 shown]
	v_fma_f32 v25, 0xbf7ba420, v61, -v115
	v_add_f32_e32 v26, v119, v26
	v_add_f32_e32 v27, v5, v27
	;; [unrolled: 1-line block ×5, first 2 shown]
	v_fma_f32 v25, 0xbe8c1d8e, v59, -v117
	v_add_f32_e32 v26, v121, v26
	v_add_f32_e32 v27, v28, v27
	v_fma_f32 v28, 0xbf1a4643, v61, -v132
	v_add_f32_e32 v4, v69, v4
	v_add_f32_e32 v24, v25, v24
	;; [unrolled: 3-line block ×10, first 2 shown]
	v_add_f32_e32 v24, v127, v26
	v_add_f32_e32 v29, v139, v29
	;; [unrolled: 1-line block ×3, first 2 shown]
	v_fma_f32 v27, 0x3f6eb680, v65, -v75
	v_add_f32_e32 v4, v70, v4
	v_fma_f32 v28, 0x3f6eb680, v64, -v142
	v_add_f32_e32 v29, v141, v29
	v_lshl_add_u32 v32, v40, 7, v49
	v_add_f32_e32 v5, v5, v27
	v_fma_f32 v27, 0x3f3d2fb0, v63, -v76
	v_add_f32_e32 v31, v73, v4
	v_add_f32_e32 v22, v118, v22
	;; [unrolled: 1-line block ×4, first 2 shown]
	v_fma_f32 v27, 0x3ee437d1, v61, -v77
	v_add_f32_e32 v5, v27, v5
	v_fma_f32 v27, 0x3dbcf732, v59, -v78
	v_add_f32_e32 v5, v27, v5
	;; [unrolled: 2-line block ×5, first 2 shown]
	v_add_f32_e32 v5, v28, v26
	v_add_f32_e32 v26, v66, v31
	;; [unrolled: 1-line block ×3, first 2 shown]
	ds_write2_b64 v32, v[8:9], v[16:17] offset1:1
	ds_write2_b64 v32, v[14:15], v[12:13] offset0:2 offset1:3
	ds_write2_b64 v32, v[10:11], v[6:7] offset0:4 offset1:5
	;; [unrolled: 1-line block ×7, first 2 shown]
	ds_write_b64 v32, v[26:27] offset:128
.LBB0_21:
	s_or_b32 exec_lo, exec_lo, s1
	v_and_b32_e32 v4, 0xff, v40
	v_mov_b32_e32 v5, 7
	s_waitcnt lgkmcnt(0)
	s_barrier
	buffer_gl0_inv
	v_mul_lo_u16 v4, 0xf1, v4
	v_add_nc_u32_e32 v20, 0xa00, v49
	v_add_nc_u32_e32 v24, 0x1600, v49
	;; [unrolled: 1-line block ×3, first 2 shown]
	v_mov_b32_e32 v43, 0x440
	v_lshrrev_b16 v34, 12, v4
	v_mov_b32_e32 v44, 3
	v_cmp_gt_u32_e64 s0, 0x88, v40
	v_mul_lo_u16 v4, v34, 17
	v_mul_u32_u24_sdwa v34, v34, v43 dst_sel:DWORD dst_unused:UNUSED_PAD src0_sel:WORD_0 src1_sel:DWORD
	v_sub_nc_u16 v35, v40, v4
	v_mul_u32_u24_sdwa v4, v35, v5 dst_sel:DWORD dst_unused:UNUSED_PAD src0_sel:BYTE_0 src1_sel:DWORD
	v_lshlrev_b32_sdwa v35, v44, v35 dst_sel:DWORD dst_unused:UNUSED_PAD src0_sel:DWORD src1_sel:BYTE_0
	v_lshlrev_b32_e32 v16, 3, v4
	v_add3_u32 v34, 0, v34, v35
	s_clause 0x3
	global_load_dwordx4 v[4:7], v16, s[12:13]
	global_load_dwordx4 v[8:11], v16, s[12:13] offset:16
	global_load_dwordx4 v[12:15], v16, s[12:13] offset:32
	global_load_dwordx2 v[32:33], v16, s[12:13] offset:48
	ds_read2_b64 v[16:19], v49 offset1:187
	ds_read2_b64 v[20:23], v20 offset0:54 offset1:241
	ds_read2_b64 v[24:27], v24 offset0:44 offset1:231
	;; [unrolled: 1-line block ×3, first 2 shown]
	s_waitcnt vmcnt(0) lgkmcnt(0)
	s_barrier
	buffer_gl0_inv
	v_mul_f32_e32 v35, v5, v19
	v_mul_f32_e32 v5, v5, v18
	;; [unrolled: 1-line block ×14, first 2 shown]
	v_fma_f32 v18, v4, v18, -v35
	v_fmac_f32_e32 v5, v4, v19
	v_fma_f32 v4, v6, v20, -v43
	v_fmac_f32_e32 v7, v6, v21
	;; [unrolled: 2-line block ×7, first 2 shown]
	v_sub_f32_e32 v8, v16, v8
	v_sub_f32_e32 v11, v17, v11
	;; [unrolled: 1-line block ×8, first 2 shown]
	v_fma_f32 v16, v16, 2.0, -v8
	v_fma_f32 v17, v17, 2.0, -v11
	;; [unrolled: 1-line block ×8, first 2 shown]
	v_sub_f32_e32 v20, v8, v15
	v_add_f32_e32 v21, v11, v12
	v_sub_f32_e32 v12, v10, v19
	v_add_f32_e32 v19, v13, v14
	v_sub_f32_e32 v4, v16, v4
	v_sub_f32_e32 v7, v17, v7
	v_fma_f32 v22, v8, 2.0, -v20
	v_fma_f32 v23, v11, 2.0, -v21
	v_sub_f32_e32 v6, v18, v6
	v_sub_f32_e32 v8, v5, v9
	v_fma_f32 v24, v10, 2.0, -v12
	v_fma_f32 v25, v13, 2.0, -v19
	v_fmamk_f32 v10, v12, 0x3f3504f3, v20
	v_fmamk_f32 v11, v19, 0x3f3504f3, v21
	v_fma_f32 v26, v16, 2.0, -v4
	v_fma_f32 v27, v17, 2.0, -v7
	v_fma_f32 v13, v18, 2.0, -v6
	v_fma_f32 v5, v5, 2.0, -v8
	v_fmamk_f32 v14, v24, 0xbf3504f3, v22
	v_fmamk_f32 v15, v25, 0xbf3504f3, v23
	v_sub_f32_e32 v8, v4, v8
	v_add_f32_e32 v9, v7, v6
	v_fmac_f32_e32 v10, 0xbf3504f3, v19
	v_fmac_f32_e32 v11, 0x3f3504f3, v12
	v_sub_f32_e32 v12, v26, v13
	v_sub_f32_e32 v13, v27, v5
	v_fmac_f32_e32 v14, 0xbf3504f3, v25
	v_fmac_f32_e32 v15, 0x3f3504f3, v24
	v_fma_f32 v16, v4, 2.0, -v8
	v_fma_f32 v17, v7, 2.0, -v9
	;; [unrolled: 1-line block ×8, first 2 shown]
	ds_write2_b64 v34, v[8:9], v[10:11] offset0:102 offset1:119
	ds_write2_b64 v34, v[16:17], v[18:19] offset0:34 offset1:51
	;; [unrolled: 1-line block ×3, first 2 shown]
	ds_write2_b64 v34, v[4:5], v[6:7] offset1:17
	s_waitcnt lgkmcnt(0)
	s_barrier
	buffer_gl0_inv
	s_and_saveexec_b32 s1, s0
	s_cbranch_execz .LBB0_23
; %bb.22:
	v_add_nc_u32_e32 v0, 0x800, v49
	v_add_nc_u32_e32 v1, 0x1000, v49
	;; [unrolled: 1-line block ×4, first 2 shown]
	ds_read2_b64 v[4:7], v49 offset1:136
	ds_read2_b64 v[16:19], v0 offset0:16 offset1:152
	ds_read2_b64 v[12:15], v1 offset0:32 offset1:168
	;; [unrolled: 1-line block ×4, first 2 shown]
	ds_read_b64 v[41:42], v49 offset:10880
.LBB0_23:
	s_or_b32 exec_lo, exec_lo, s1
	s_waitcnt lgkmcnt(0)
	s_barrier
	buffer_gl0_inv
	s_and_saveexec_b32 s1, s0
	s_cbranch_execz .LBB0_25
; %bb.24:
	v_add_nc_u32_e32 v20, 0xffffff78, v40
	v_mov_b32_e32 v21, 0
	v_add_nc_u32_e32 v47, 0x800, v49
	v_add_nc_u32_e32 v48, 0x1000, v49
	;; [unrolled: 1-line block ×3, first 2 shown]
	v_cndmask_b32_e64 v20, v20, v40, s0
	v_add_nc_u32_e32 v51, 0x2000, v49
	v_mul_i32_i24_e32 v20, 10, v20
	v_lshlrev_b64 v[20:21], 3, v[20:21]
	v_add_co_u32 v43, s0, s12, v20
	v_add_co_ci_u32_e64 v44, s0, s13, v21, s0
	s_clause 0x4
	global_load_dwordx4 v[20:23], v[43:44], off offset:1016
	global_load_dwordx4 v[24:27], v[43:44], off offset:952
	;; [unrolled: 1-line block ×5, first 2 shown]
	s_waitcnt vmcnt(4)
	v_mul_f32_e32 v52, v41, v23
	s_waitcnt vmcnt(3)
	v_mul_f32_e32 v53, v6, v25
	v_mul_f32_e32 v25, v7, v25
	;; [unrolled: 1-line block ×7, first 2 shown]
	s_waitcnt vmcnt(2)
	v_mul_f32_e32 v56, v0, v31
	s_waitcnt vmcnt(1)
	v_mul_f32_e32 v57, v18, v33
	v_mul_f32_e32 v33, v19, v33
	;; [unrolled: 1-line block ×5, first 2 shown]
	s_waitcnt vmcnt(0)
	v_mul_f32_e32 v60, v8, v46
	v_mul_f32_e32 v61, v14, v44
	v_fmac_f32_e32 v52, v42, v22
	v_fmac_f32_e32 v53, v7, v24
	v_fma_f32 v6, v6, v24, -v25
	v_fma_f32 v22, v41, v22, -v23
	v_mul_f32_e32 v31, v1, v31
	v_mul_f32_e32 v35, v13, v35
	;; [unrolled: 1-line block ×4, first 2 shown]
	v_fmac_f32_e32 v54, v3, v20
	v_fmac_f32_e32 v55, v17, v26
	v_fma_f32 v3, v16, v26, -v27
	v_fma_f32 v16, v2, v20, -v21
	v_fmac_f32_e32 v56, v1, v30
	v_fmac_f32_e32 v57, v19, v32
	v_fma_f32 v1, v18, v32, -v33
	v_fmac_f32_e32 v58, v11, v28
	v_fmac_f32_e32 v59, v13, v34
	;; [unrolled: 3-line block ×3, first 2 shown]
	v_add_f32_e32 v9, v53, v52
	v_sub_f32_e32 v10, v6, v22
	v_add_f32_e32 v21, v6, v22
	v_sub_f32_e32 v23, v53, v52
	v_add_f32_e32 v32, v5, v53
	v_add_f32_e32 v6, v4, v6
	v_fma_f32 v17, v0, v30, -v31
	v_fma_f32 v0, v12, v34, -v35
	;; [unrolled: 1-line block ×4, first 2 shown]
	v_add_f32_e32 v11, v55, v54
	v_sub_f32_e32 v12, v3, v16
	v_add_f32_e32 v13, v57, v56
	v_add_f32_e32 v15, v59, v58
	;; [unrolled: 1-line block ×4, first 2 shown]
	v_sub_f32_e32 v25, v55, v54
	v_sub_f32_e32 v27, v57, v56
	;; [unrolled: 1-line block ×4, first 2 shown]
	v_mul_f32_e32 v33, 0xbe11bafb, v9
	v_mul_f32_e32 v43, 0xbf7d64f0, v23
	;; [unrolled: 1-line block ×6, first 2 shown]
	v_add_f32_e32 v32, v32, v55
	v_add_f32_e32 v3, v6, v3
	v_sub_f32_e32 v14, v1, v17
	v_sub_f32_e32 v18, v0, v2
	;; [unrolled: 1-line block ×3, first 2 shown]
	v_add_f32_e32 v26, v1, v17
	v_add_f32_e32 v28, v0, v2
	;; [unrolled: 1-line block ×3, first 2 shown]
	v_mul_f32_e32 v34, 0xbf75a155, v11
	v_mul_f32_e32 v35, 0x3ed4b147, v13
	;; [unrolled: 1-line block ×36, first 2 shown]
	v_fmamk_f32 v6, v10, 0x3f7d64f0, v33
	v_fmamk_f32 v100, v21, 0xbe11bafb, v43
	v_fmamk_f32 v105, v10, 0x3f4178ce, v62
	v_fmamk_f32 v110, v21, 0xbf27a4f4, v67
	v_fmamk_f32 v115, v10, 0x3e903f40, v72
	v_fmamk_f32 v120, v21, 0xbf75a155, v77
	v_fmac_f32_e32 v72, 0xbe903f40, v10
	v_fma_f32 v77, 0xbf75a155, v21, -v77
	v_fmac_f32_e32 v62, 0xbf4178ce, v10
	v_fma_f32 v67, 0xbf27a4f4, v21, -v67
	;; [unrolled: 2-line block ×3, first 2 shown]
	v_add_f32_e32 v32, v32, v57
	v_add_f32_e32 v1, v3, v1
	v_mul_f32_e32 v83, 0xbf4178ce, v12
	v_mul_f32_e32 v84, 0x3e903f40, v14
	;; [unrolled: 1-line block ×8, first 2 shown]
	v_fmamk_f32 v55, v12, 0xbe903f40, v34
	v_fmamk_f32 v97, v14, 0xbf68dda4, v35
	;; [unrolled: 1-line block ×24, first 2 shown]
	v_fmac_f32_e32 v73, 0x3f0a6770, v12
	v_fmac_f32_e32 v74, 0xbf4178ce, v14
	v_fmac_f32_e32 v75, 0x3f68dda4, v18
	v_fmac_f32_e32 v76, 0xbf7d64f0, v20
	v_fma_f32 v78, 0x3f575c64, v24, -v78
	v_fma_f32 v79, 0xbf27a4f4, v26, -v79
	v_fma_f32 v80, 0x3ed4b147, v28, -v80
	v_fma_f32 v81, 0xbe11bafb, v30, -v81
	v_fmac_f32_e32 v63, 0x3f7d64f0, v12
	v_fmac_f32_e32 v64, 0xbf0a6770, v14
	v_fmac_f32_e32 v65, 0xbe903f40, v18
	v_fmac_f32_e32 v66, 0x3f68dda4, v20
	v_fma_f32 v68, 0xbe11bafb, v24, -v68
	v_fma_f32 v69, 0x3f575c64, v26, -v69
	v_fma_f32 v70, 0xbf75a155, v28, -v70
	v_fma_f32 v71, 0x3ed4b147, v30, -v71
	;; [unrolled: 8-line block ×3, first 2 shown]
	v_fmamk_f32 v43, v9, 0x3ed4b147, v82
	v_fma_f32 v125, 0x3ed4b147, v21, -v87
	v_fma_f32 v126, 0xbf27a4f4, v24, -v88
	;; [unrolled: 1-line block ×5, first 2 shown]
	v_fmamk_f32 v130, v9, 0x3f575c64, v92
	v_fma_f32 v135, 0x3f575c64, v21, -v23
	v_fma_f32 v136, 0x3ed4b147, v24, -v25
	v_fma_f32 v137, 0xbe11bafb, v26, -v27
	v_fma_f32 v138, 0xbf27a4f4, v28, -v29
	v_fma_f32 v139, 0xbf75a155, v30, -v31
	v_fma_f32 v3, 0x3ed4b147, v9, -v82
	v_fmac_f32_e32 v87, 0x3ed4b147, v21
	v_fmac_f32_e32 v88, 0xbf27a4f4, v24
	;; [unrolled: 1-line block ×5, first 2 shown]
	v_fma_f32 v9, 0x3f575c64, v9, -v92
	v_fmac_f32_e32 v23, 0x3f575c64, v21
	v_fmac_f32_e32 v25, 0x3ed4b147, v24
	;; [unrolled: 1-line block ×5, first 2 shown]
	v_add_f32_e32 v6, v5, v6
	v_add_f32_e32 v21, v4, v100
	;; [unrolled: 1-line block ×14, first 2 shown]
	v_fmamk_f32 v44, v11, 0xbf27a4f4, v83
	v_fmamk_f32 v45, v13, 0xbf75a155, v84
	;; [unrolled: 1-line block ×5, first 2 shown]
	v_fma_f32 v57, 0xbf27a4f4, v11, -v83
	v_fma_f32 v82, 0xbf75a155, v13, -v84
	;; [unrolled: 1-line block ×5, first 2 shown]
	v_add_f32_e32 v43, v5, v43
	v_add_f32_e32 v85, v4, v125
	;; [unrolled: 1-line block ×22, first 2 shown]
	v_fmamk_f32 v132, v13, 0xbe11bafb, v94
	v_fma_f32 v13, 0xbe11bafb, v13, -v94
	v_add_f32_e32 v5, v11, v5
	v_add_f32_e32 v4, v25, v4
	;; [unrolled: 1-line block ×38, first 2 shown]
	v_fmamk_f32 v133, v15, 0xbf27a4f4, v95
	v_add_f32_e32 v33, v132, v43
	v_add_f32_e32 v1, v82, v1
	v_add_f32_e32 v3, v89, v3
	v_add_f32_e32 v34, v137, v44
	v_add_f32_e32 v6, v98, v6
	v_add_f32_e32 v0, v104, v7
	v_add_f32_e32 v7, v76, v21
	v_add_f32_e32 v10, v20, v10
	v_add_f32_e32 v20, v28, v56
	v_add_f32_e32 v21, v30, v17
	v_fma_f32 v15, 0xbf27a4f4, v15, -v95
	v_add_f32_e32 v4, v27, v4
	v_add_f32_e32 v12, v46, v12
	;; [unrolled: 1-line block ×6, first 2 shown]
	v_fmamk_f32 v134, v19, 0xbf75a155, v96
	v_add_f32_e32 v27, v138, v34
	v_add_f32_e32 v1, v99, v6
	;; [unrolled: 1-line block ×5, first 2 shown]
	v_fma_f32 v19, 0xbf75a155, v19, -v96
	v_add_f32_e32 v34, v15, v5
	v_add_f32_e32 v29, v29, v4
	;; [unrolled: 1-line block ×19, first 2 shown]
	ds_write2_b64 v47, v[12:13], v[10:11] offset0:16 offset1:152
	ds_write2_b64 v48, v[8:9], v[6:7] offset0:32 offset1:168
	;; [unrolled: 1-line block ×4, first 2 shown]
	ds_write2_b64 v49, v[20:21], v[14:15] offset1:136
	ds_write_b64 v49, v[18:19] offset:10880
.LBB0_25:
	s_or_b32 exec_lo, exec_lo, s1
	s_waitcnt lgkmcnt(0)
	s_barrier
	buffer_gl0_inv
	s_and_saveexec_b32 s0, vcc_lo
	s_cbranch_execz .LBB0_27
; %bb.26:
	v_mul_lo_u32 v0, s3, v38
	v_mul_lo_u32 v1, s2, v39
	v_mad_u64_u32 v[4:5], null, s2, v38, 0
	v_lshl_add_u32 v16, v40, 3, 0
	v_mov_b32_e32 v41, 0
	v_lshlrev_b64 v[8:9], 3, v[36:37]
	v_add_nc_u32_e32 v10, 0xbb, v40
	v_add_nc_u32_e32 v12, 0x176, v40
	;; [unrolled: 1-line block ×3, first 2 shown]
	v_add3_u32 v5, v5, v1, v0
	ds_read2_b64 v[0:3], v16 offset1:187
	v_mov_b32_e32 v11, v41
	v_lshlrev_b64 v[14:15], 3, v[40:41]
	v_mov_b32_e32 v13, v41
	v_lshlrev_b64 v[4:5], 3, v[4:5]
	v_lshlrev_b64 v[12:13], 3, v[12:13]
	v_add_co_u32 v17, vcc_lo, s10, v4
	v_add_co_ci_u32_e32 v18, vcc_lo, s11, v5, vcc_lo
	ds_read2_b64 v[4:7], v6 offset0:54 offset1:241
	v_add_co_u32 v20, vcc_lo, v17, v8
	v_add_co_ci_u32_e32 v21, vcc_lo, v18, v9, vcc_lo
	v_lshlrev_b64 v[8:9], 3, v[10:11]
	v_add_co_u32 v10, vcc_lo, v20, v14
	v_add_co_ci_u32_e32 v11, vcc_lo, v21, v15, vcc_lo
	v_add_nc_u32_e32 v14, 0x231, v40
	v_add_co_u32 v8, vcc_lo, v20, v8
	v_add_co_ci_u32_e32 v9, vcc_lo, v21, v9, vcc_lo
	v_add_co_u32 v12, vcc_lo, v20, v12
	v_mov_b32_e32 v15, v41
	v_add_co_ci_u32_e32 v13, vcc_lo, v21, v13, vcc_lo
	s_waitcnt lgkmcnt(1)
	global_store_dwordx2 v[10:11], v[0:1], off
	global_store_dwordx2 v[8:9], v[2:3], off
	s_waitcnt lgkmcnt(0)
	global_store_dwordx2 v[12:13], v[4:5], off
	v_lshlrev_b64 v[0:1], 3, v[14:15]
	v_add_nc_u32_e32 v2, 0x1600, v16
	v_add_nc_u32_e32 v4, 0x2ec, v40
	v_mov_b32_e32 v5, v41
	v_add_nc_u32_e32 v8, 0x3a7, v40
	v_mov_b32_e32 v9, v41
	v_add_nc_u32_e32 v10, 0x2200, v16
	v_add_co_u32 v12, vcc_lo, v20, v0
	v_add_co_ci_u32_e32 v13, vcc_lo, v21, v1, vcc_lo
	ds_read2_b64 v[0:3], v2 offset0:44 offset1:231
	v_lshlrev_b64 v[4:5], 3, v[4:5]
	v_lshlrev_b64 v[14:15], 3, v[8:9]
	v_add_nc_u32_e32 v16, 0x462, v40
	v_mov_b32_e32 v17, v41
	ds_read2_b64 v[8:11], v10 offset0:34 offset1:221
	v_add_nc_u32_e32 v40, 0x51d, v40
	v_add_co_u32 v4, vcc_lo, v20, v4
	v_lshlrev_b64 v[16:17], 3, v[16:17]
	v_add_co_ci_u32_e32 v5, vcc_lo, v21, v5, vcc_lo
	v_add_co_u32 v14, vcc_lo, v20, v14
	v_lshlrev_b64 v[18:19], 3, v[40:41]
	v_add_co_ci_u32_e32 v15, vcc_lo, v21, v15, vcc_lo
	v_add_co_u32 v16, vcc_lo, v20, v16
	v_add_co_ci_u32_e32 v17, vcc_lo, v21, v17, vcc_lo
	v_add_co_u32 v18, vcc_lo, v20, v18
	v_add_co_ci_u32_e32 v19, vcc_lo, v21, v19, vcc_lo
	global_store_dwordx2 v[12:13], v[6:7], off
	s_waitcnt lgkmcnt(1)
	global_store_dwordx2 v[4:5], v[0:1], off
	global_store_dwordx2 v[14:15], v[2:3], off
	s_waitcnt lgkmcnt(0)
	global_store_dwordx2 v[16:17], v[8:9], off
	global_store_dwordx2 v[18:19], v[10:11], off
.LBB0_27:
	s_endpgm
	.section	.rodata,"a",@progbits
	.p2align	6, 0x0
	.amdhsa_kernel fft_rtc_fwd_len1496_factors_17_8_11_wgs_187_tpt_187_halfLds_sp_op_CI_CI_unitstride_sbrr_C2R_dirReg
		.amdhsa_group_segment_fixed_size 0
		.amdhsa_private_segment_fixed_size 0
		.amdhsa_kernarg_size 104
		.amdhsa_user_sgpr_count 6
		.amdhsa_user_sgpr_private_segment_buffer 1
		.amdhsa_user_sgpr_dispatch_ptr 0
		.amdhsa_user_sgpr_queue_ptr 0
		.amdhsa_user_sgpr_kernarg_segment_ptr 1
		.amdhsa_user_sgpr_dispatch_id 0
		.amdhsa_user_sgpr_flat_scratch_init 0
		.amdhsa_user_sgpr_private_segment_size 0
		.amdhsa_wavefront_size32 1
		.amdhsa_uses_dynamic_stack 0
		.amdhsa_system_sgpr_private_segment_wavefront_offset 0
		.amdhsa_system_sgpr_workgroup_id_x 1
		.amdhsa_system_sgpr_workgroup_id_y 0
		.amdhsa_system_sgpr_workgroup_id_z 0
		.amdhsa_system_sgpr_workgroup_info 0
		.amdhsa_system_vgpr_workitem_id 0
		.amdhsa_next_free_vgpr 144
		.amdhsa_next_free_sgpr 27
		.amdhsa_reserve_vcc 1
		.amdhsa_reserve_flat_scratch 0
		.amdhsa_float_round_mode_32 0
		.amdhsa_float_round_mode_16_64 0
		.amdhsa_float_denorm_mode_32 3
		.amdhsa_float_denorm_mode_16_64 3
		.amdhsa_dx10_clamp 1
		.amdhsa_ieee_mode 1
		.amdhsa_fp16_overflow 0
		.amdhsa_workgroup_processor_mode 1
		.amdhsa_memory_ordered 1
		.amdhsa_forward_progress 0
		.amdhsa_shared_vgpr_count 0
		.amdhsa_exception_fp_ieee_invalid_op 0
		.amdhsa_exception_fp_denorm_src 0
		.amdhsa_exception_fp_ieee_div_zero 0
		.amdhsa_exception_fp_ieee_overflow 0
		.amdhsa_exception_fp_ieee_underflow 0
		.amdhsa_exception_fp_ieee_inexact 0
		.amdhsa_exception_int_div_zero 0
	.end_amdhsa_kernel
	.text
.Lfunc_end0:
	.size	fft_rtc_fwd_len1496_factors_17_8_11_wgs_187_tpt_187_halfLds_sp_op_CI_CI_unitstride_sbrr_C2R_dirReg, .Lfunc_end0-fft_rtc_fwd_len1496_factors_17_8_11_wgs_187_tpt_187_halfLds_sp_op_CI_CI_unitstride_sbrr_C2R_dirReg
                                        ; -- End function
	.section	.AMDGPU.csdata,"",@progbits
; Kernel info:
; codeLenInByte = 11180
; NumSgprs: 29
; NumVgprs: 144
; ScratchSize: 0
; MemoryBound: 0
; FloatMode: 240
; IeeeMode: 1
; LDSByteSize: 0 bytes/workgroup (compile time only)
; SGPRBlocks: 3
; VGPRBlocks: 17
; NumSGPRsForWavesPerEU: 29
; NumVGPRsForWavesPerEU: 144
; Occupancy: 7
; WaveLimiterHint : 1
; COMPUTE_PGM_RSRC2:SCRATCH_EN: 0
; COMPUTE_PGM_RSRC2:USER_SGPR: 6
; COMPUTE_PGM_RSRC2:TRAP_HANDLER: 0
; COMPUTE_PGM_RSRC2:TGID_X_EN: 1
; COMPUTE_PGM_RSRC2:TGID_Y_EN: 0
; COMPUTE_PGM_RSRC2:TGID_Z_EN: 0
; COMPUTE_PGM_RSRC2:TIDIG_COMP_CNT: 0
	.text
	.p2alignl 6, 3214868480
	.fill 48, 4, 3214868480
	.type	__hip_cuid_9111c7d31dfa69b0,@object ; @__hip_cuid_9111c7d31dfa69b0
	.section	.bss,"aw",@nobits
	.globl	__hip_cuid_9111c7d31dfa69b0
__hip_cuid_9111c7d31dfa69b0:
	.byte	0                               ; 0x0
	.size	__hip_cuid_9111c7d31dfa69b0, 1

	.ident	"AMD clang version 19.0.0git (https://github.com/RadeonOpenCompute/llvm-project roc-6.4.0 25133 c7fe45cf4b819c5991fe208aaa96edf142730f1d)"
	.section	".note.GNU-stack","",@progbits
	.addrsig
	.addrsig_sym __hip_cuid_9111c7d31dfa69b0
	.amdgpu_metadata
---
amdhsa.kernels:
  - .args:
      - .actual_access:  read_only
        .address_space:  global
        .offset:         0
        .size:           8
        .value_kind:     global_buffer
      - .offset:         8
        .size:           8
        .value_kind:     by_value
      - .actual_access:  read_only
        .address_space:  global
        .offset:         16
        .size:           8
        .value_kind:     global_buffer
      - .actual_access:  read_only
        .address_space:  global
        .offset:         24
        .size:           8
        .value_kind:     global_buffer
      - .actual_access:  read_only
        .address_space:  global
        .offset:         32
        .size:           8
        .value_kind:     global_buffer
      - .offset:         40
        .size:           8
        .value_kind:     by_value
      - .actual_access:  read_only
        .address_space:  global
        .offset:         48
        .size:           8
        .value_kind:     global_buffer
      - .actual_access:  read_only
        .address_space:  global
        .offset:         56
        .size:           8
        .value_kind:     global_buffer
      - .offset:         64
        .size:           4
        .value_kind:     by_value
      - .actual_access:  read_only
        .address_space:  global
        .offset:         72
        .size:           8
        .value_kind:     global_buffer
      - .actual_access:  read_only
        .address_space:  global
        .offset:         80
        .size:           8
        .value_kind:     global_buffer
      - .actual_access:  read_only
        .address_space:  global
        .offset:         88
        .size:           8
        .value_kind:     global_buffer
      - .actual_access:  write_only
        .address_space:  global
        .offset:         96
        .size:           8
        .value_kind:     global_buffer
    .group_segment_fixed_size: 0
    .kernarg_segment_align: 8
    .kernarg_segment_size: 104
    .language:       OpenCL C
    .language_version:
      - 2
      - 0
    .max_flat_workgroup_size: 187
    .name:           fft_rtc_fwd_len1496_factors_17_8_11_wgs_187_tpt_187_halfLds_sp_op_CI_CI_unitstride_sbrr_C2R_dirReg
    .private_segment_fixed_size: 0
    .sgpr_count:     29
    .sgpr_spill_count: 0
    .symbol:         fft_rtc_fwd_len1496_factors_17_8_11_wgs_187_tpt_187_halfLds_sp_op_CI_CI_unitstride_sbrr_C2R_dirReg.kd
    .uniform_work_group_size: 1
    .uses_dynamic_stack: false
    .vgpr_count:     144
    .vgpr_spill_count: 0
    .wavefront_size: 32
    .workgroup_processor_mode: 1
amdhsa.target:   amdgcn-amd-amdhsa--gfx1030
amdhsa.version:
  - 1
  - 2
...

	.end_amdgpu_metadata
